;; amdgpu-corpus repo=ROCm/rocFFT kind=compiled arch=gfx1030 opt=O3
	.text
	.amdgcn_target "amdgcn-amd-amdhsa--gfx1030"
	.amdhsa_code_object_version 6
	.protected	fft_rtc_fwd_len144_factors_6_6_4_wgs_120_tpt_12_halfLds_sp_ip_CI_unitstride_sbrr_dirReg ; -- Begin function fft_rtc_fwd_len144_factors_6_6_4_wgs_120_tpt_12_halfLds_sp_ip_CI_unitstride_sbrr_dirReg
	.globl	fft_rtc_fwd_len144_factors_6_6_4_wgs_120_tpt_12_halfLds_sp_ip_CI_unitstride_sbrr_dirReg
	.p2align	8
	.type	fft_rtc_fwd_len144_factors_6_6_4_wgs_120_tpt_12_halfLds_sp_ip_CI_unitstride_sbrr_dirReg,@function
fft_rtc_fwd_len144_factors_6_6_4_wgs_120_tpt_12_halfLds_sp_ip_CI_unitstride_sbrr_dirReg: ; @fft_rtc_fwd_len144_factors_6_6_4_wgs_120_tpt_12_halfLds_sp_ip_CI_unitstride_sbrr_dirReg
; %bb.0:
	s_load_dwordx4 s[8:11], s[4:5], 0x0
	v_mul_u32_u24_e32 v1, 0x1556, v0
	s_clause 0x1
	s_load_dwordx2 s[2:3], s[4:5], 0x50
	s_load_dwordx2 s[12:13], s[4:5], 0x18
	v_lshrrev_b32_e32 v2, 16, v1
	v_mov_b32_e32 v1, 0
	v_mad_u64_u32 v[5:6], null, s6, 10, v[2:3]
	v_mov_b32_e32 v6, v1
	v_mov_b32_e32 v3, 0
	;; [unrolled: 1-line block ×5, first 2 shown]
	s_waitcnt lgkmcnt(0)
	v_cmp_lt_u64_e64 s0, s[10:11], 2
	s_and_b32 vcc_lo, exec_lo, s0
	s_cbranch_vccnz .LBB0_8
; %bb.1:
	s_load_dwordx2 s[0:1], s[4:5], 0x10
	v_mov_b32_e32 v3, 0
	v_mov_b32_e32 v7, v6
	s_add_u32 s6, s12, 8
	v_mov_b32_e32 v4, 0
	v_mov_b32_e32 v6, v5
	s_addc_u32 s7, s13, 0
	s_mov_b64 s[16:17], 1
	s_waitcnt lgkmcnt(0)
	s_add_u32 s14, s0, 8
	s_addc_u32 s15, s1, 0
.LBB0_2:                                ; =>This Inner Loop Header: Depth=1
	s_load_dwordx2 s[18:19], s[14:15], 0x0
                                        ; implicit-def: $vgpr8_vgpr9
	s_mov_b32 s0, exec_lo
	s_waitcnt lgkmcnt(0)
	v_or_b32_e32 v2, s19, v7
	v_cmpx_ne_u64_e32 0, v[1:2]
	s_xor_b32 s1, exec_lo, s0
	s_cbranch_execz .LBB0_4
; %bb.3:                                ;   in Loop: Header=BB0_2 Depth=1
	v_cvt_f32_u32_e32 v2, s18
	v_cvt_f32_u32_e32 v8, s19
	s_sub_u32 s0, 0, s18
	s_subb_u32 s20, 0, s19
	v_fmac_f32_e32 v2, 0x4f800000, v8
	v_rcp_f32_e32 v2, v2
	v_mul_f32_e32 v2, 0x5f7ffffc, v2
	v_mul_f32_e32 v8, 0x2f800000, v2
	v_trunc_f32_e32 v8, v8
	v_fmac_f32_e32 v2, 0xcf800000, v8
	v_cvt_u32_f32_e32 v8, v8
	v_cvt_u32_f32_e32 v2, v2
	v_mul_lo_u32 v9, s0, v8
	v_mul_hi_u32 v10, s0, v2
	v_mul_lo_u32 v11, s20, v2
	v_add_nc_u32_e32 v9, v10, v9
	v_mul_lo_u32 v10, s0, v2
	v_add_nc_u32_e32 v9, v9, v11
	v_mul_hi_u32 v11, v2, v10
	v_mul_lo_u32 v12, v2, v9
	v_mul_hi_u32 v13, v2, v9
	v_mul_hi_u32 v14, v8, v10
	v_mul_lo_u32 v10, v8, v10
	v_mul_hi_u32 v15, v8, v9
	v_mul_lo_u32 v9, v8, v9
	v_add_co_u32 v11, vcc_lo, v11, v12
	v_add_co_ci_u32_e32 v12, vcc_lo, 0, v13, vcc_lo
	v_add_co_u32 v10, vcc_lo, v11, v10
	v_add_co_ci_u32_e32 v10, vcc_lo, v12, v14, vcc_lo
	v_add_co_ci_u32_e32 v11, vcc_lo, 0, v15, vcc_lo
	v_add_co_u32 v9, vcc_lo, v10, v9
	v_add_co_ci_u32_e32 v10, vcc_lo, 0, v11, vcc_lo
	v_add_co_u32 v2, vcc_lo, v2, v9
	v_add_co_ci_u32_e32 v8, vcc_lo, v8, v10, vcc_lo
	v_mul_hi_u32 v9, s0, v2
	v_mul_lo_u32 v11, s20, v2
	v_mul_lo_u32 v10, s0, v8
	v_add_nc_u32_e32 v9, v9, v10
	v_mul_lo_u32 v10, s0, v2
	v_add_nc_u32_e32 v9, v9, v11
	v_mul_hi_u32 v11, v2, v10
	v_mul_lo_u32 v12, v2, v9
	v_mul_hi_u32 v13, v2, v9
	v_mul_hi_u32 v14, v8, v10
	v_mul_lo_u32 v10, v8, v10
	v_mul_hi_u32 v15, v8, v9
	v_mul_lo_u32 v9, v8, v9
	v_add_co_u32 v11, vcc_lo, v11, v12
	v_add_co_ci_u32_e32 v12, vcc_lo, 0, v13, vcc_lo
	v_add_co_u32 v10, vcc_lo, v11, v10
	v_add_co_ci_u32_e32 v10, vcc_lo, v12, v14, vcc_lo
	v_add_co_ci_u32_e32 v11, vcc_lo, 0, v15, vcc_lo
	v_add_co_u32 v9, vcc_lo, v10, v9
	v_add_co_ci_u32_e32 v10, vcc_lo, 0, v11, vcc_lo
	v_add_co_u32 v2, vcc_lo, v2, v9
	v_add_co_ci_u32_e32 v12, vcc_lo, v8, v10, vcc_lo
	v_mul_hi_u32 v14, v6, v2
	v_mad_u64_u32 v[10:11], null, v7, v2, 0
	v_mad_u64_u32 v[8:9], null, v6, v12, 0
	v_mad_u64_u32 v[12:13], null, v7, v12, 0
	v_add_co_u32 v2, vcc_lo, v14, v8
	v_add_co_ci_u32_e32 v8, vcc_lo, 0, v9, vcc_lo
	v_add_co_u32 v2, vcc_lo, v2, v10
	v_add_co_ci_u32_e32 v2, vcc_lo, v8, v11, vcc_lo
	v_add_co_ci_u32_e32 v8, vcc_lo, 0, v13, vcc_lo
	v_add_co_u32 v2, vcc_lo, v2, v12
	v_add_co_ci_u32_e32 v10, vcc_lo, 0, v8, vcc_lo
	v_mul_lo_u32 v11, s19, v2
	v_mad_u64_u32 v[8:9], null, s18, v2, 0
	v_mul_lo_u32 v12, s18, v10
	v_sub_co_u32 v8, vcc_lo, v6, v8
	v_add3_u32 v9, v9, v12, v11
	v_sub_nc_u32_e32 v11, v7, v9
	v_subrev_co_ci_u32_e64 v11, s0, s19, v11, vcc_lo
	v_add_co_u32 v12, s0, v2, 2
	v_add_co_ci_u32_e64 v13, s0, 0, v10, s0
	v_sub_co_u32 v14, s0, v8, s18
	v_sub_co_ci_u32_e32 v9, vcc_lo, v7, v9, vcc_lo
	v_subrev_co_ci_u32_e64 v11, s0, 0, v11, s0
	v_cmp_le_u32_e32 vcc_lo, s18, v14
	v_cmp_eq_u32_e64 s0, s19, v9
	v_cndmask_b32_e64 v14, 0, -1, vcc_lo
	v_cmp_le_u32_e32 vcc_lo, s19, v11
	v_cndmask_b32_e64 v15, 0, -1, vcc_lo
	v_cmp_le_u32_e32 vcc_lo, s18, v8
	;; [unrolled: 2-line block ×3, first 2 shown]
	v_cndmask_b32_e64 v16, 0, -1, vcc_lo
	v_cmp_eq_u32_e32 vcc_lo, s19, v11
	v_cndmask_b32_e64 v8, v16, v8, s0
	v_cndmask_b32_e32 v11, v15, v14, vcc_lo
	v_add_co_u32 v14, vcc_lo, v2, 1
	v_add_co_ci_u32_e32 v15, vcc_lo, 0, v10, vcc_lo
	v_cmp_ne_u32_e32 vcc_lo, 0, v11
	v_cndmask_b32_e32 v9, v15, v13, vcc_lo
	v_cndmask_b32_e32 v11, v14, v12, vcc_lo
	v_cmp_ne_u32_e32 vcc_lo, 0, v8
	v_cndmask_b32_e32 v9, v10, v9, vcc_lo
	v_cndmask_b32_e32 v8, v2, v11, vcc_lo
.LBB0_4:                                ;   in Loop: Header=BB0_2 Depth=1
	s_andn2_saveexec_b32 s0, s1
	s_cbranch_execz .LBB0_6
; %bb.5:                                ;   in Loop: Header=BB0_2 Depth=1
	v_cvt_f32_u32_e32 v2, s18
	s_sub_i32 s1, 0, s18
	v_rcp_iflag_f32_e32 v2, v2
	v_mul_f32_e32 v2, 0x4f7ffffe, v2
	v_cvt_u32_f32_e32 v2, v2
	v_mul_lo_u32 v8, s1, v2
	v_mul_hi_u32 v8, v2, v8
	v_add_nc_u32_e32 v2, v2, v8
	v_mul_hi_u32 v2, v6, v2
	v_mul_lo_u32 v8, v2, s18
	v_add_nc_u32_e32 v9, 1, v2
	v_sub_nc_u32_e32 v8, v6, v8
	v_subrev_nc_u32_e32 v10, s18, v8
	v_cmp_le_u32_e32 vcc_lo, s18, v8
	v_cndmask_b32_e32 v8, v8, v10, vcc_lo
	v_cndmask_b32_e32 v2, v2, v9, vcc_lo
	v_cmp_le_u32_e32 vcc_lo, s18, v8
	v_add_nc_u32_e32 v9, 1, v2
	v_cndmask_b32_e32 v8, v2, v9, vcc_lo
	v_mov_b32_e32 v9, v1
.LBB0_6:                                ;   in Loop: Header=BB0_2 Depth=1
	s_or_b32 exec_lo, exec_lo, s0
	s_load_dwordx2 s[0:1], s[6:7], 0x0
	v_mul_lo_u32 v2, v9, s18
	v_mul_lo_u32 v12, v8, s19
	v_mad_u64_u32 v[10:11], null, v8, s18, 0
	s_add_u32 s16, s16, 1
	s_addc_u32 s17, s17, 0
	s_add_u32 s6, s6, 8
	s_addc_u32 s7, s7, 0
	;; [unrolled: 2-line block ×3, first 2 shown]
	v_add3_u32 v2, v11, v12, v2
	v_sub_co_u32 v6, vcc_lo, v6, v10
	v_sub_co_ci_u32_e32 v2, vcc_lo, v7, v2, vcc_lo
	s_waitcnt lgkmcnt(0)
	v_mul_lo_u32 v7, s1, v6
	v_mul_lo_u32 v2, s0, v2
	v_mad_u64_u32 v[3:4], null, s0, v6, v[3:4]
	v_cmp_ge_u64_e64 s0, s[16:17], s[10:11]
	s_and_b32 vcc_lo, exec_lo, s0
	v_add3_u32 v4, v7, v4, v2
	s_cbranch_vccnz .LBB0_8
; %bb.7:                                ;   in Loop: Header=BB0_2 Depth=1
	v_mov_b32_e32 v6, v8
	v_mov_b32_e32 v7, v9
	s_branch .LBB0_2
.LBB0_8:
	s_lshl_b64 s[0:1], s[10:11], 3
                                        ; implicit-def: $vgpr11
                                        ; implicit-def: $vgpr21
                                        ; implicit-def: $vgpr27
                                        ; implicit-def: $vgpr23
                                        ; implicit-def: $vgpr25
                                        ; implicit-def: $vgpr19
                                        ; implicit-def: $vgpr15
                                        ; implicit-def: $vgpr17
                                        ; implicit-def: $vgpr13
                                        ; implicit-def: $vgpr29
	s_add_u32 s0, s12, s0
	s_addc_u32 s1, s13, s1
	s_load_dwordx2 s[0:1], s[0:1], 0x0
	s_load_dwordx2 s[4:5], s[4:5], 0x20
	s_waitcnt lgkmcnt(0)
	v_mul_lo_u32 v6, s0, v9
	v_mul_lo_u32 v7, s1, v8
	v_mad_u64_u32 v[1:2], null, s0, v8, v[3:4]
	v_mul_hi_u32 v3, 0x15555556, v0
	v_cmp_gt_u64_e32 vcc_lo, s[4:5], v[8:9]
                                        ; implicit-def: $vgpr9
	v_add3_u32 v2, v7, v2, v6
                                        ; implicit-def: $vgpr7
	v_mul_u32_u24_e32 v3, 12, v3
	v_lshlrev_b64 v[1:2], 3, v[1:2]
	v_sub_nc_u32_e32 v3, v0, v3
	s_and_saveexec_b32 s1, vcc_lo
; %bb.9:
	v_mov_b32_e32 v4, 0
	v_add_co_u32 v0, s0, s2, v1
	v_lshlrev_b64 v[6:7], 3, v[3:4]
	v_add_co_ci_u32_e64 v4, s0, s3, v2, s0
	v_add_co_u32 v16, s0, v0, v6
	v_add_co_ci_u32_e64 v17, s0, v4, v7, s0
	s_clause 0xb
	global_load_dwordx2 v[10:11], v[16:17], off
	global_load_dwordx2 v[26:27], v[16:17], off offset:384
	global_load_dwordx2 v[22:23], v[16:17], off offset:768
	;; [unrolled: 1-line block ×11, first 2 shown]
; %bb.10:
	s_or_b32 exec_lo, exec_lo, s1
	v_mul_hi_u32 v0, 0xcccccccd, v5
	s_waitcnt vmcnt(1)
	v_add_f32_e32 v34, v24, v28
	v_add_f32_e32 v4, v10, v26
	;; [unrolled: 1-line block ×3, first 2 shown]
	v_sub_f32_e32 v35, v29, v25
	v_add_f32_e32 v36, v21, v29
	v_add_f32_e32 v29, v25, v29
	v_fmac_f32_e32 v20, -0.5, v34
	v_lshrrev_b32_e32 v0, 3, v0
	v_add_f32_e32 v30, v26, v22
	v_sub_f32_e32 v31, v27, v23
	v_add_f32_e32 v32, v11, v27
	v_add_f32_e32 v27, v27, v23
	v_mul_lo_u32 v0, v0, 10
	v_sub_f32_e32 v28, v28, v24
	v_add_f32_e32 v37, v4, v22
	v_fmac_f32_e32 v21, -0.5, v29
	v_fmamk_f32 v4, v35, 0x3f5db3d7, v20
	v_sub_f32_e32 v26, v26, v22
	v_fmac_f32_e32 v10, -0.5, v30
	v_fmac_f32_e32 v11, -0.5, v27
	v_sub_nc_u32_e32 v0, v5, v0
	v_fmac_f32_e32 v20, 0xbf5db3d7, v35
	v_fmamk_f32 v5, v28, 0xbf5db3d7, v21
	v_fmac_f32_e32 v21, 0x3f5db3d7, v28
	v_mul_f32_e32 v28, 0.5, v4
	v_add_f32_e32 v30, v32, v23
	v_fmamk_f32 v27, v31, 0x3f5db3d7, v10
	v_fmac_f32_e32 v10, 0xbf5db3d7, v31
	v_fmamk_f32 v29, v26, 0xbf5db3d7, v11
	v_fmac_f32_e32 v11, 0x3f5db3d7, v26
	v_add_f32_e32 v26, v24, v33
	v_mul_f32_e32 v31, -0.5, v20
	v_add_f32_e32 v25, v25, v36
	v_mul_f32_e32 v32, 0xbf5db3d7, v4
	v_fmac_f32_e32 v28, 0x3f5db3d7, v5
	s_waitcnt vmcnt(0)
	v_add_f32_e32 v34, v18, v16
	v_mul_f32_e32 v33, -0.5, v21
	v_fmac_f32_e32 v31, 0x3f5db3d7, v21
	v_add_f32_e32 v4, v37, v26
	v_fmac_f32_e32 v32, 0.5, v5
	v_add_f32_e32 v5, v27, v28
	v_add_f32_e32 v22, v30, v25
	v_sub_f32_e32 v21, v37, v26
	v_sub_f32_e32 v26, v27, v28
	;; [unrolled: 1-line block ×3, first 2 shown]
	v_add_f32_e32 v28, v6, v18
	v_fmac_f32_e32 v6, -0.5, v34
	v_sub_f32_e32 v30, v19, v17
	v_fmac_f32_e32 v33, 0xbf5db3d7, v20
	v_add_f32_e32 v20, v10, v31
	v_add_f32_e32 v23, v29, v32
	v_sub_f32_e32 v27, v10, v31
	v_sub_f32_e32 v10, v29, v32
	v_add_f32_e32 v29, v19, v17
	v_fmamk_f32 v31, v30, 0x3f5db3d7, v6
	v_fmac_f32_e32 v6, 0xbf5db3d7, v30
	v_add_f32_e32 v30, v14, v12
	v_add_f32_e32 v28, v28, v16
	;; [unrolled: 1-line block ×3, first 2 shown]
	v_fmac_f32_e32 v7, -0.5, v29
	v_sub_f32_e32 v16, v18, v16
	v_add_f32_e32 v18, v15, v13
	v_add_f32_e32 v29, v14, v8
	v_fmac_f32_e32 v8, -0.5, v30
	v_sub_f32_e32 v30, v15, v13
	v_mul_u32_u24_e32 v0, 0x90, v0
	v_add_f32_e32 v15, v15, v9
	v_fmac_f32_e32 v9, -0.5, v18
	v_sub_f32_e32 v14, v14, v12
	v_add_f32_e32 v18, v19, v17
	v_fmamk_f32 v17, v30, 0x3f5db3d7, v8
	v_fmac_f32_e32 v8, 0xbf5db3d7, v30
	v_add_f32_e32 v24, v11, v33
	v_sub_f32_e32 v11, v11, v33
	v_fmamk_f32 v30, v14, 0xbf5db3d7, v9
	v_fmac_f32_e32 v9, 0x3f5db3d7, v14
	v_mul_f32_e32 v32, 0.5, v17
	v_mul_f32_e32 v33, -0.5, v8
	v_mul_f32_e32 v34, 0xbf5db3d7, v17
	v_lshlrev_b32_e32 v48, 2, v0
	v_fmamk_f32 v19, v16, 0xbf5db3d7, v7
	v_add_f32_e32 v29, v12, v29
	v_fmac_f32_e32 v32, 0x3f5db3d7, v30
	v_fmac_f32_e32 v33, 0x3f5db3d7, v9
	v_fmac_f32_e32 v34, 0.5, v30
	v_mul_u32_u24_e32 v0, 6, v3
	v_add_nc_u32_e32 v30, 0, v48
	v_fmac_f32_e32 v7, 0x3f5db3d7, v16
	v_add_f32_e32 v16, v13, v15
	v_add_f32_e32 v12, v28, v29
	v_mul_f32_e32 v35, -0.5, v9
	v_add_f32_e32 v14, v6, v33
	v_add_f32_e32 v9, v19, v34
	v_sub_f32_e32 v15, v28, v29
	v_lshl_add_u32 v36, v0, 2, v30
	v_sub_f32_e32 v29, v6, v33
	v_sub_f32_e32 v6, v19, v34
	v_add_nc_u16 v19, v3, 12
	v_add_f32_e32 v13, v31, v32
	v_sub_f32_e32 v28, v31, v32
	ds_write2_b64 v36, v[4:5], v[20:21] offset1:1
	ds_write2_b64 v36, v[12:13], v[14:15] offset0:36 offset1:37
	ds_write2_b64 v36, v[26:27], v[28:29] offset0:2 offset1:38
	v_add_nc_u32_e32 v4, -6, v3
	v_cmp_gt_u32_e64 s0, 6, v3
	v_and_b32_e32 v5, 0xff, v19
	v_fmac_f32_e32 v35, 0xbf5db3d7, v8
	v_add_f32_e32 v8, v18, v16
	v_sub_f32_e32 v18, v18, v16
	v_mad_i32_i24 v16, 0xffffffec, v3, v36
	v_lshl_add_u32 v0, v3, 2, v30
	v_cndmask_b32_e64 v46, v4, v3, s0
	v_mul_lo_u16 v12, 0xab, v5
	s_waitcnt lgkmcnt(0)
	s_barrier
	buffer_gl0_inv
	ds_read2_b32 v[14:15], v16 offset0:12 offset1:24
	ds_read2_b32 v[26:27], v16 offset0:36 offset1:48
	;; [unrolled: 1-line block ×5, first 2 shown]
	ds_read_b32 v49, v0
	ds_read_b32 v50, v16 offset:528
	s_waitcnt lgkmcnt(0)
	v_mul_i32_i24_e32 v4, 5, v46
	v_mov_b32_e32 v5, 0
	s_barrier
	buffer_gl0_inv
	ds_write2_b64 v36, v[22:23], v[24:25] offset1:1
	v_lshrrev_b16 v25, 10, v12
	v_lshlrev_b64 v[12:13], 3, v[4:5]
	v_add_f32_e32 v17, v7, v35
	v_sub_f32_e32 v7, v7, v35
	ds_write2_b64 v36, v[8:9], v[17:18] offset0:36 offset1:37
	ds_write2_b64 v36, v[10:11], v[6:7] offset0:2 offset1:38
	v_mul_lo_u16 v4, v25, 6
	v_add_co_u32 v17, s0, s8, v12
	v_add_co_ci_u32_e64 v18, s0, s9, v13, s0
	v_sub_nc_u16 v4, v19, v4
	v_mov_b32_e32 v19, 5
	s_waitcnt lgkmcnt(0)
	s_barrier
	buffer_gl0_inv
	s_clause 0x1
	global_load_dwordx4 v[6:9], v[17:18], off
	global_load_dwordx4 v[10:13], v[17:18], off offset:16
	v_mul_u32_u24_sdwa v19, v4, v19 dst_sel:DWORD dst_unused:UNUSED_PAD src0_sel:BYTE_0 src1_sel:DWORD
	v_cmp_lt_u32_e64 s0, 5, v3
	v_mov_b32_e32 v47, 2
	v_and_b32_e32 v25, 0xffff, v25
	v_lshlrev_b32_e32 v52, 2, v46
	v_lshlrev_b32_e32 v36, 3, v19
	s_clause 0x3
	global_load_dwordx2 v[34:35], v[17:18], off offset:32
	global_load_dwordx4 v[17:20], v36, s[8:9]
	global_load_dwordx4 v[21:24], v36, s[8:9] offset:16
	global_load_dwordx2 v[36:37], v36, s[8:9] offset:32
	v_cndmask_b32_e64 v44, 0, 0x90, s0
	ds_read2_b32 v[38:39], v16 offset0:12 offset1:24
	ds_read2_b32 v[40:41], v16 offset0:36 offset1:48
	;; [unrolled: 1-line block ×3, first 2 shown]
	v_lshlrev_b32_sdwa v4, v47, v4 dst_sel:DWORD dst_unused:UNUSED_PAD src0_sel:DWORD src1_sel:BYTE_0
	v_add_nc_u32_e32 v51, 0, v44
	ds_read2_b32 v[44:45], v16 offset0:84 offset1:96
	ds_read2_b32 v[46:47], v16 offset0:108 offset1:120
	v_mad_u32_u24 v25, 0x90, v25, 0
	v_add3_u32 v51, v51, v52, v48
	v_add3_u32 v4, v25, v4, v48
	ds_read_b32 v25, v0
	ds_read_b32 v48, v16 offset:528
	s_waitcnt vmcnt(0) lgkmcnt(0)
	s_barrier
	buffer_gl0_inv
	v_mul_f32_e32 v52, v39, v7
	v_mul_f32_e32 v7, v15, v7
	;; [unrolled: 1-line block ×8, first 2 shown]
	v_fma_f32 v15, v15, v6, -v52
	v_fmac_f32_e32 v7, v39, v6
	v_fma_f32 v6, v27, v8, -v53
	v_fmac_f32_e32 v9, v41, v8
	v_mul_f32_e32 v8, v47, v35
	v_mul_f32_e32 v27, v33, v35
	;; [unrolled: 1-line block ×4, first 2 shown]
	v_fma_f32 v29, v29, v10, -v54
	v_fmac_f32_e32 v11, v43, v10
	v_fma_f32 v10, v31, v12, -v55
	v_fmac_f32_e32 v13, v45, v12
	v_mul_f32_e32 v12, v42, v20
	v_mul_f32_e32 v20, v28, v20
	;; [unrolled: 1-line block ×4, first 2 shown]
	v_fma_f32 v8, v33, v34, -v8
	v_mul_f32_e32 v33, v46, v24
	v_mul_f32_e32 v24, v32, v24
	v_fma_f32 v26, v26, v17, -v35
	v_mul_f32_e32 v35, v50, v37
	v_fmac_f32_e32 v27, v47, v34
	v_mul_f32_e32 v34, v48, v37
	v_fmac_f32_e32 v18, v40, v17
	v_fmac_f32_e32 v20, v42, v19
	v_fmac_f32_e32 v22, v44, v21
	v_fmac_f32_e32 v24, v46, v23
	v_fmac_f32_e32 v35, v48, v36
	v_fma_f32 v17, v30, v21, -v31
	v_fma_f32 v21, v50, v36, -v34
	;; [unrolled: 1-line block ×3, first 2 shown]
	v_sub_f32_e32 v34, v11, v27
	v_add_f32_e32 v36, v7, v11
	v_add_f32_e32 v11, v11, v27
	v_fma_f32 v19, v32, v23, -v33
	v_sub_f32_e32 v30, v9, v13
	v_add_f32_e32 v31, v25, v9
	v_add_f32_e32 v9, v9, v13
	;; [unrolled: 1-line block ×4, first 2 shown]
	v_sub_f32_e32 v40, v20, v24
	v_add_f32_e32 v41, v38, v20
	v_add_f32_e32 v20, v20, v24
	v_sub_f32_e32 v44, v22, v35
	v_add_f32_e32 v45, v18, v22
	v_add_f32_e32 v22, v22, v35
	;; [unrolled: 1-line block ×5, first 2 shown]
	v_sub_f32_e32 v29, v29, v8
	v_add_f32_e32 v37, v14, v12
	v_fmac_f32_e32 v7, -0.5, v11
	v_sub_f32_e32 v6, v6, v10
	v_add_f32_e32 v42, v26, v17
	v_fmac_f32_e32 v25, -0.5, v9
	v_fmac_f32_e32 v15, -0.5, v33
	v_add_f32_e32 v39, v12, v19
	v_sub_f32_e32 v12, v12, v19
	v_sub_f32_e32 v17, v17, v21
	v_fmac_f32_e32 v49, -0.5, v28
	v_fmac_f32_e32 v38, -0.5, v20
	;; [unrolled: 1-line block ×3, first 2 shown]
	v_add_f32_e32 v10, v23, v10
	v_add_f32_e32 v8, v32, v8
	v_fmac_f32_e32 v26, -0.5, v43
	v_add_f32_e32 v11, v37, v19
	v_add_f32_e32 v19, v41, v24
	v_fmamk_f32 v24, v29, 0xbf5db3d7, v7
	v_add_f32_e32 v13, v31, v13
	v_add_f32_e32 v9, v36, v27
	;; [unrolled: 1-line block ×3, first 2 shown]
	v_fmamk_f32 v23, v6, 0xbf5db3d7, v25
	v_fmac_f32_e32 v25, 0x3f5db3d7, v6
	v_fmamk_f32 v6, v34, 0x3f5db3d7, v15
	v_fmac_f32_e32 v15, 0xbf5db3d7, v34
	;; [unrolled: 2-line block ×4, first 2 shown]
	v_fmamk_f32 v12, v17, 0xbf5db3d7, v18
	v_add_f32_e32 v27, v10, v8
	v_sub_f32_e32 v8, v10, v8
	v_fmamk_f32 v10, v44, 0x3f5db3d7, v26
	v_fmac_f32_e32 v26, 0xbf5db3d7, v44
	v_fmac_f32_e32 v18, 0x3f5db3d7, v17
	v_mul_f32_e32 v17, 0x3f5db3d7, v24
	v_fmac_f32_e32 v7, 0x3f5db3d7, v29
	v_add_f32_e32 v28, v13, v9
	v_sub_f32_e32 v29, v13, v9
	v_add_f32_e32 v13, v11, v20
	v_sub_f32_e32 v11, v11, v20
	v_mul_f32_e32 v20, -0.5, v15
	v_fmac_f32_e32 v14, -0.5, v39
	v_mul_f32_e32 v33, 0x3f5db3d7, v12
	v_mul_f32_e32 v34, -0.5, v26
	v_fmac_f32_e32 v17, 0.5, v6
	v_fmac_f32_e32 v20, 0x3f5db3d7, v7
	v_add_f32_e32 v21, v45, v35
	v_mul_f32_e32 v35, 0xbf5db3d7, v10
	v_fmamk_f32 v9, v40, 0x3f5db3d7, v14
	v_mul_f32_e32 v32, -0.5, v7
	v_fmac_f32_e32 v33, 0.5, v10
	v_fmac_f32_e32 v14, 0xbf5db3d7, v40
	v_fmac_f32_e32 v34, 0x3f5db3d7, v18
	v_mul_f32_e32 v31, 0xbf5db3d7, v6
	v_add_f32_e32 v6, v22, v17
	v_add_f32_e32 v7, v49, v20
	v_fmac_f32_e32 v35, 0.5, v12
	v_sub_f32_e32 v10, v22, v17
	v_sub_f32_e32 v12, v49, v20
	v_fmac_f32_e32 v32, 0xbf5db3d7, v15
	v_add_f32_e32 v15, v9, v33
	v_add_f32_e32 v17, v14, v34
	v_sub_f32_e32 v9, v9, v33
	v_sub_f32_e32 v14, v14, v34
	v_mul_f32_e32 v36, -0.5, v18
	ds_write2_b32 v51, v27, v6 offset1:6
	ds_write2_b32 v51, v7, v8 offset0:12 offset1:18
	ds_write2_b32 v51, v10, v12 offset0:24 offset1:30
	ds_write2_b32 v4, v13, v15 offset1:6
	ds_write2_b32 v4, v17, v11 offset0:12 offset1:18
	ds_write2_b32 v4, v9, v14 offset0:24 offset1:30
	s_waitcnt lgkmcnt(0)
	s_barrier
	buffer_gl0_inv
	ds_read2_b32 v[8:9], v16 offset0:36 offset1:48
	ds_read2_b32 v[14:15], v16 offset0:60 offset1:72
	;; [unrolled: 1-line block ×5, first 2 shown]
	ds_read_b32 v17, v0
	ds_read_b32 v18, v16 offset:528
	v_fmac_f32_e32 v31, 0.5, v24
	v_fmac_f32_e32 v36, 0xbf5db3d7, v26
	v_add_f32_e32 v26, v25, v32
	v_sub_f32_e32 v22, v25, v32
	v_add_f32_e32 v25, v30, v35
	v_add_f32_e32 v24, v23, v31
	v_sub_f32_e32 v20, v23, v31
	v_add_f32_e32 v23, v19, v21
	v_add_f32_e32 v27, v38, v36
	v_sub_f32_e32 v19, v19, v21
	v_sub_f32_e32 v21, v30, v35
	;; [unrolled: 1-line block ×3, first 2 shown]
	s_waitcnt lgkmcnt(0)
	s_barrier
	buffer_gl0_inv
	ds_write2_b32 v51, v28, v24 offset1:6
	ds_write2_b32 v51, v26, v29 offset0:12 offset1:18
	ds_write2_b32 v51, v20, v22 offset0:24 offset1:30
	ds_write2_b32 v4, v23, v25 offset1:6
	ds_write2_b32 v4, v27, v19 offset0:12 offset1:18
	ds_write2_b32 v4, v21, v30 offset0:24 offset1:30
	s_waitcnt lgkmcnt(0)
	s_barrier
	buffer_gl0_inv
	s_and_saveexec_b32 s0, vcc_lo
	s_cbranch_execz .LBB0_12
; %bb.11:
	v_add_nc_u32_e32 v37, 24, v3
	v_mul_u32_u24_e32 v4, 3, v3
	v_mul_u32_u24_e32 v23, 3, v37
	v_lshlrev_b32_e32 v4, 3, v4
	v_mul_hi_u32 v43, 0x38e38e39, v37
	v_lshlrev_b32_e32 v27, 3, v23
	s_clause 0x3
	global_load_dwordx4 v[19:22], v4, s[8:9] offset:240
	global_load_dwordx2 v[31:32], v4, s[8:9] offset:256
	global_load_dwordx4 v[23:26], v27, s[8:9] offset:240
	global_load_dwordx2 v[33:34], v27, s[8:9] offset:256
	v_mad_u32_u24 v4, v37, 3, 0xffffffdc
	v_lshrrev_b32_e32 v49, 3, v43
	v_lshlrev_b64 v[27:28], 3, v[4:5]
	v_mov_b32_e32 v4, v5
	v_lshlrev_b64 v[47:48], 3, v[3:4]
	v_add_co_u32 v35, vcc_lo, s8, v27
	v_add_co_ci_u32_e32 v36, vcc_lo, s9, v28, vcc_lo
	v_mul_u32_u24_e32 v4, 0x6c, v49
	s_clause 0x1
	global_load_dwordx4 v[27:30], v[35:36], off offset:240
	global_load_dwordx2 v[35:36], v[35:36], off offset:256
	ds_read2_b32 v[37:38], v16 offset0:12 offset1:24
	ds_read2_b32 v[39:40], v16 offset0:84 offset1:96
	;; [unrolled: 1-line block ×5, first 2 shown]
	ds_read_b32 v16, v16 offset:528
	v_add_co_u32 v3, vcc_lo, s2, v1
	v_add_co_ci_u32_e32 v49, vcc_lo, s3, v2, vcc_lo
	v_lshlrev_b64 v[1:2], 3, v[4:5]
	ds_read_b32 v5, v0
	v_add_co_u32 v3, vcc_lo, v3, v47
	v_add_co_ci_u32_e32 v4, vcc_lo, v49, v48, vcc_lo
	v_add_co_u32 v0, vcc_lo, v3, v1
	v_add_co_ci_u32_e32 v1, vcc_lo, v4, v2, vcc_lo
	s_waitcnt vmcnt(5)
	v_mul_f32_e32 v2, v15, v22
	s_waitcnt lgkmcnt(3)
	v_mul_f32_e32 v47, v43, v20
	s_waitcnt vmcnt(4) lgkmcnt(2)
	v_mul_f32_e32 v48, v45, v32
	v_mul_f32_e32 v22, v42, v22
	;; [unrolled: 1-line block ×4, first 2 shown]
	s_waitcnt vmcnt(3)
	v_mul_f32_e32 v49, v13, v26
	v_mul_f32_e32 v50, v41, v24
	s_waitcnt vmcnt(2) lgkmcnt(1)
	v_mul_f32_e32 v51, v16, v34
	v_mul_f32_e32 v26, v40, v26
	v_mul_f32_e32 v24, v14, v24
	v_mul_f32_e32 v34, v18, v34
	v_fmac_f32_e32 v2, v42, v21
	v_fma_f32 v8, v8, v19, -v47
	v_fma_f32 v10, v10, v31, -v48
	;; [unrolled: 1-line block ×3, first 2 shown]
	v_fmac_f32_e32 v20, v19, v43
	v_fmac_f32_e32 v32, v31, v45
	;; [unrolled: 1-line block ×3, first 2 shown]
	v_fma_f32 v19, v14, v23, -v50
	v_fma_f32 v14, v18, v33, -v51
	v_fma_f32 v13, v13, v25, -v26
	v_fmac_f32_e32 v24, v23, v41
	v_fmac_f32_e32 v34, v33, v16
	s_waitcnt lgkmcnt(0)
	v_sub_f32_e32 v2, v5, v2
	v_sub_f32_e32 v10, v8, v10
	;; [unrolled: 1-line block ×4, first 2 shown]
	s_waitcnt vmcnt(1)
	v_mul_f32_e32 v18, v12, v30
	v_mul_f32_e32 v21, v44, v28
	s_waitcnt vmcnt(0)
	v_mul_f32_e32 v22, v46, v36
	v_mul_f32_e32 v23, v39, v30
	;; [unrolled: 1-line block ×4, first 2 shown]
	v_sub_f32_e32 v28, v38, v49
	v_sub_f32_e32 v30, v19, v14
	;; [unrolled: 1-line block ×4, first 2 shown]
	v_add_f32_e32 v14, v2, v10
	v_sub_f32_e32 v13, v15, v16
	v_fma_f32 v5, v5, 2.0, -v2
	v_fma_f32 v16, v20, 2.0, -v16
	;; [unrolled: 1-line block ×4, first 2 shown]
	v_fmac_f32_e32 v18, v39, v29
	v_fma_f32 v21, v9, v27, -v21
	v_fma_f32 v20, v11, v35, -v22
	;; [unrolled: 1-line block ×3, first 2 shown]
	v_fmac_f32_e32 v25, v27, v44
	v_fmac_f32_e32 v26, v35, v46
	v_fma_f32 v22, v38, 2.0, -v28
	v_fma_f32 v23, v24, 2.0, -v32
	;; [unrolled: 1-line block ×6, first 2 shown]
	v_sub_f32_e32 v16, v5, v16
	v_sub_f32_e32 v15, v33, v17
	global_store_dwordx2 v[3:4], v[13:14], off offset:864
	v_sub_f32_e32 v2, v37, v18
	v_sub_f32_e32 v14, v21, v20
	;; [unrolled: 1-line block ×6, first 2 shown]
	v_fma_f32 v20, v5, 2.0, -v16
	v_fma_f32 v19, v33, 2.0, -v15
	global_store_dwordx2 v[3:4], v[10:11], off offset:288
	global_store_dwordx2 v[3:4], v[15:16], off offset:576
	v_add_f32_e32 v11, v2, v14
	v_fma_f32 v16, v37, 2.0, -v2
	v_fma_f32 v23, v25, 2.0, -v26
	;; [unrolled: 1-line block ×4, first 2 shown]
	v_sub_f32_e32 v10, v24, v26
	v_add_f32_e32 v9, v28, v30
	v_sub_f32_e32 v8, v31, v32
	global_store_dwordx2 v[3:4], v[19:20], off
	v_sub_f32_e32 v20, v16, v23
	v_sub_f32_e32 v19, v25, v14
	v_fma_f32 v15, v2, 2.0, -v11
	v_fma_f32 v14, v24, 2.0, -v10
	;; [unrolled: 1-line block ×6, first 2 shown]
	global_store_dwordx2 v[3:4], v[10:11], off offset:960
	global_store_dwordx2 v[0:1], v[17:18], off offset:768
	v_fma_f32 v11, v16, 2.0, -v20
	v_fma_f32 v10, v25, 2.0, -v19
	global_store_dwordx2 v[3:4], v[14:15], off offset:384
	global_store_dwordx2 v[3:4], v[19:20], off offset:672
	;; [unrolled: 1-line block ×6, first 2 shown]
.LBB0_12:
	s_endpgm
	.section	.rodata,"a",@progbits
	.p2align	6, 0x0
	.amdhsa_kernel fft_rtc_fwd_len144_factors_6_6_4_wgs_120_tpt_12_halfLds_sp_ip_CI_unitstride_sbrr_dirReg
		.amdhsa_group_segment_fixed_size 0
		.amdhsa_private_segment_fixed_size 0
		.amdhsa_kernarg_size 88
		.amdhsa_user_sgpr_count 6
		.amdhsa_user_sgpr_private_segment_buffer 1
		.amdhsa_user_sgpr_dispatch_ptr 0
		.amdhsa_user_sgpr_queue_ptr 0
		.amdhsa_user_sgpr_kernarg_segment_ptr 1
		.amdhsa_user_sgpr_dispatch_id 0
		.amdhsa_user_sgpr_flat_scratch_init 0
		.amdhsa_user_sgpr_private_segment_size 0
		.amdhsa_wavefront_size32 1
		.amdhsa_uses_dynamic_stack 0
		.amdhsa_system_sgpr_private_segment_wavefront_offset 0
		.amdhsa_system_sgpr_workgroup_id_x 1
		.amdhsa_system_sgpr_workgroup_id_y 0
		.amdhsa_system_sgpr_workgroup_id_z 0
		.amdhsa_system_sgpr_workgroup_info 0
		.amdhsa_system_vgpr_workitem_id 0
		.amdhsa_next_free_vgpr 56
		.amdhsa_next_free_sgpr 21
		.amdhsa_reserve_vcc 1
		.amdhsa_reserve_flat_scratch 0
		.amdhsa_float_round_mode_32 0
		.amdhsa_float_round_mode_16_64 0
		.amdhsa_float_denorm_mode_32 3
		.amdhsa_float_denorm_mode_16_64 3
		.amdhsa_dx10_clamp 1
		.amdhsa_ieee_mode 1
		.amdhsa_fp16_overflow 0
		.amdhsa_workgroup_processor_mode 1
		.amdhsa_memory_ordered 1
		.amdhsa_forward_progress 0
		.amdhsa_shared_vgpr_count 0
		.amdhsa_exception_fp_ieee_invalid_op 0
		.amdhsa_exception_fp_denorm_src 0
		.amdhsa_exception_fp_ieee_div_zero 0
		.amdhsa_exception_fp_ieee_overflow 0
		.amdhsa_exception_fp_ieee_underflow 0
		.amdhsa_exception_fp_ieee_inexact 0
		.amdhsa_exception_int_div_zero 0
	.end_amdhsa_kernel
	.text
.Lfunc_end0:
	.size	fft_rtc_fwd_len144_factors_6_6_4_wgs_120_tpt_12_halfLds_sp_ip_CI_unitstride_sbrr_dirReg, .Lfunc_end0-fft_rtc_fwd_len144_factors_6_6_4_wgs_120_tpt_12_halfLds_sp_ip_CI_unitstride_sbrr_dirReg
                                        ; -- End function
	.section	.AMDGPU.csdata,"",@progbits
; Kernel info:
; codeLenInByte = 4072
; NumSgprs: 23
; NumVgprs: 56
; ScratchSize: 0
; MemoryBound: 0
; FloatMode: 240
; IeeeMode: 1
; LDSByteSize: 0 bytes/workgroup (compile time only)
; SGPRBlocks: 2
; VGPRBlocks: 6
; NumSGPRsForWavesPerEU: 23
; NumVGPRsForWavesPerEU: 56
; Occupancy: 16
; WaveLimiterHint : 1
; COMPUTE_PGM_RSRC2:SCRATCH_EN: 0
; COMPUTE_PGM_RSRC2:USER_SGPR: 6
; COMPUTE_PGM_RSRC2:TRAP_HANDLER: 0
; COMPUTE_PGM_RSRC2:TGID_X_EN: 1
; COMPUTE_PGM_RSRC2:TGID_Y_EN: 0
; COMPUTE_PGM_RSRC2:TGID_Z_EN: 0
; COMPUTE_PGM_RSRC2:TIDIG_COMP_CNT: 0
	.text
	.p2alignl 6, 3214868480
	.fill 48, 4, 3214868480
	.type	__hip_cuid_5567990a1c20f65b,@object ; @__hip_cuid_5567990a1c20f65b
	.section	.bss,"aw",@nobits
	.globl	__hip_cuid_5567990a1c20f65b
__hip_cuid_5567990a1c20f65b:
	.byte	0                               ; 0x0
	.size	__hip_cuid_5567990a1c20f65b, 1

	.ident	"AMD clang version 19.0.0git (https://github.com/RadeonOpenCompute/llvm-project roc-6.4.0 25133 c7fe45cf4b819c5991fe208aaa96edf142730f1d)"
	.section	".note.GNU-stack","",@progbits
	.addrsig
	.addrsig_sym __hip_cuid_5567990a1c20f65b
	.amdgpu_metadata
---
amdhsa.kernels:
  - .args:
      - .actual_access:  read_only
        .address_space:  global
        .offset:         0
        .size:           8
        .value_kind:     global_buffer
      - .offset:         8
        .size:           8
        .value_kind:     by_value
      - .actual_access:  read_only
        .address_space:  global
        .offset:         16
        .size:           8
        .value_kind:     global_buffer
      - .actual_access:  read_only
        .address_space:  global
        .offset:         24
        .size:           8
        .value_kind:     global_buffer
      - .offset:         32
        .size:           8
        .value_kind:     by_value
      - .actual_access:  read_only
        .address_space:  global
        .offset:         40
        .size:           8
        .value_kind:     global_buffer
      - .actual_access:  read_only
        .address_space:  global
        .offset:         48
        .size:           8
        .value_kind:     global_buffer
      - .offset:         56
        .size:           4
        .value_kind:     by_value
      - .actual_access:  read_only
        .address_space:  global
        .offset:         64
        .size:           8
        .value_kind:     global_buffer
      - .actual_access:  read_only
        .address_space:  global
        .offset:         72
        .size:           8
        .value_kind:     global_buffer
      - .address_space:  global
        .offset:         80
        .size:           8
        .value_kind:     global_buffer
    .group_segment_fixed_size: 0
    .kernarg_segment_align: 8
    .kernarg_segment_size: 88
    .language:       OpenCL C
    .language_version:
      - 2
      - 0
    .max_flat_workgroup_size: 120
    .name:           fft_rtc_fwd_len144_factors_6_6_4_wgs_120_tpt_12_halfLds_sp_ip_CI_unitstride_sbrr_dirReg
    .private_segment_fixed_size: 0
    .sgpr_count:     23
    .sgpr_spill_count: 0
    .symbol:         fft_rtc_fwd_len144_factors_6_6_4_wgs_120_tpt_12_halfLds_sp_ip_CI_unitstride_sbrr_dirReg.kd
    .uniform_work_group_size: 1
    .uses_dynamic_stack: false
    .vgpr_count:     56
    .vgpr_spill_count: 0
    .wavefront_size: 32
    .workgroup_processor_mode: 1
amdhsa.target:   amdgcn-amd-amdhsa--gfx1030
amdhsa.version:
  - 1
  - 2
...

	.end_amdgpu_metadata
